;; amdgpu-corpus repo=ROCm/rocFFT kind=compiled arch=gfx1201 opt=O3
	.text
	.amdgcn_target "amdgcn-amd-amdhsa--gfx1201"
	.amdhsa_code_object_version 6
	.protected	fft_rtc_fwd_len624_factors_13_4_6_2_wgs_52_tpt_52_dp_ip_CI_unitstride_sbrr_R2C_dirReg ; -- Begin function fft_rtc_fwd_len624_factors_13_4_6_2_wgs_52_tpt_52_dp_ip_CI_unitstride_sbrr_R2C_dirReg
	.globl	fft_rtc_fwd_len624_factors_13_4_6_2_wgs_52_tpt_52_dp_ip_CI_unitstride_sbrr_R2C_dirReg
	.p2align	8
	.type	fft_rtc_fwd_len624_factors_13_4_6_2_wgs_52_tpt_52_dp_ip_CI_unitstride_sbrr_R2C_dirReg,@function
fft_rtc_fwd_len624_factors_13_4_6_2_wgs_52_tpt_52_dp_ip_CI_unitstride_sbrr_R2C_dirReg: ; @fft_rtc_fwd_len624_factors_13_4_6_2_wgs_52_tpt_52_dp_ip_CI_unitstride_sbrr_R2C_dirReg
; %bb.0:
	s_clause 0x2
	s_load_b128 s[4:7], s[0:1], 0x0
	s_load_b64 s[8:9], s[0:1], 0x50
	s_load_b64 s[10:11], s[0:1], 0x18
	v_mul_u32_u24_e32 v1, 0x4ed, v0
	v_mov_b32_e32 v3, 0
	s_delay_alu instid0(VALU_DEP_2) | instskip(NEXT) | instid1(VALU_DEP_1)
	v_lshrrev_b32_e32 v1, 16, v1
	v_add_nc_u32_e32 v5, ttmp9, v1
	v_mov_b32_e32 v1, 0
	v_mov_b32_e32 v2, 0
	;; [unrolled: 1-line block ×3, first 2 shown]
	s_wait_kmcnt 0x0
	v_cmp_lt_u64_e64 s2, s[6:7], 2
	s_delay_alu instid0(VALU_DEP_1)
	s_and_b32 vcc_lo, exec_lo, s2
	s_cbranch_vccnz .LBB0_8
; %bb.1:
	s_load_b64 s[2:3], s[0:1], 0x10
	v_mov_b32_e32 v1, 0
	v_mov_b32_e32 v2, 0
	s_add_nc_u64 s[12:13], s[10:11], 8
	s_mov_b64 s[14:15], 1
	s_wait_kmcnt 0x0
	s_add_nc_u64 s[16:17], s[2:3], 8
	s_mov_b32 s3, 0
.LBB0_2:                                ; =>This Inner Loop Header: Depth=1
	s_load_b64 s[18:19], s[16:17], 0x0
                                        ; implicit-def: $vgpr7_vgpr8
	s_mov_b32 s2, exec_lo
	s_wait_kmcnt 0x0
	v_or_b32_e32 v4, s19, v6
	s_delay_alu instid0(VALU_DEP_1)
	v_cmpx_ne_u64_e32 0, v[3:4]
	s_wait_alu 0xfffe
	s_xor_b32 s20, exec_lo, s2
	s_cbranch_execz .LBB0_4
; %bb.3:                                ;   in Loop: Header=BB0_2 Depth=1
	s_cvt_f32_u32 s2, s18
	s_cvt_f32_u32 s21, s19
	s_sub_nc_u64 s[24:25], 0, s[18:19]
	s_wait_alu 0xfffe
	s_delay_alu instid0(SALU_CYCLE_1) | instskip(SKIP_1) | instid1(SALU_CYCLE_2)
	s_fmamk_f32 s2, s21, 0x4f800000, s2
	s_wait_alu 0xfffe
	v_s_rcp_f32 s2, s2
	s_delay_alu instid0(TRANS32_DEP_1) | instskip(SKIP_1) | instid1(SALU_CYCLE_2)
	s_mul_f32 s2, s2, 0x5f7ffffc
	s_wait_alu 0xfffe
	s_mul_f32 s21, s2, 0x2f800000
	s_wait_alu 0xfffe
	s_delay_alu instid0(SALU_CYCLE_2) | instskip(SKIP_1) | instid1(SALU_CYCLE_2)
	s_trunc_f32 s21, s21
	s_wait_alu 0xfffe
	s_fmamk_f32 s2, s21, 0xcf800000, s2
	s_cvt_u32_f32 s23, s21
	s_wait_alu 0xfffe
	s_delay_alu instid0(SALU_CYCLE_1) | instskip(SKIP_1) | instid1(SALU_CYCLE_2)
	s_cvt_u32_f32 s22, s2
	s_wait_alu 0xfffe
	s_mul_u64 s[26:27], s[24:25], s[22:23]
	s_wait_alu 0xfffe
	s_mul_hi_u32 s29, s22, s27
	s_mul_i32 s28, s22, s27
	s_mul_hi_u32 s2, s22, s26
	s_mul_i32 s30, s23, s26
	s_wait_alu 0xfffe
	s_add_nc_u64 s[28:29], s[2:3], s[28:29]
	s_mul_hi_u32 s21, s23, s26
	s_mul_hi_u32 s31, s23, s27
	s_add_co_u32 s2, s28, s30
	s_wait_alu 0xfffe
	s_add_co_ci_u32 s2, s29, s21
	s_mul_i32 s26, s23, s27
	s_add_co_ci_u32 s27, s31, 0
	s_wait_alu 0xfffe
	s_add_nc_u64 s[26:27], s[2:3], s[26:27]
	s_wait_alu 0xfffe
	v_add_co_u32 v4, s2, s22, s26
	s_delay_alu instid0(VALU_DEP_1) | instskip(SKIP_1) | instid1(VALU_DEP_1)
	s_cmp_lg_u32 s2, 0
	s_add_co_ci_u32 s23, s23, s27
	v_readfirstlane_b32 s22, v4
	s_wait_alu 0xfffe
	s_delay_alu instid0(VALU_DEP_1)
	s_mul_u64 s[24:25], s[24:25], s[22:23]
	s_wait_alu 0xfffe
	s_mul_hi_u32 s27, s22, s25
	s_mul_i32 s26, s22, s25
	s_mul_hi_u32 s2, s22, s24
	s_mul_i32 s28, s23, s24
	s_wait_alu 0xfffe
	s_add_nc_u64 s[26:27], s[2:3], s[26:27]
	s_mul_hi_u32 s21, s23, s24
	s_mul_hi_u32 s22, s23, s25
	s_wait_alu 0xfffe
	s_add_co_u32 s2, s26, s28
	s_add_co_ci_u32 s2, s27, s21
	s_mul_i32 s24, s23, s25
	s_add_co_ci_u32 s25, s22, 0
	s_wait_alu 0xfffe
	s_add_nc_u64 s[24:25], s[2:3], s[24:25]
	s_wait_alu 0xfffe
	v_add_co_u32 v4, s2, v4, s24
	s_delay_alu instid0(VALU_DEP_1) | instskip(SKIP_1) | instid1(VALU_DEP_1)
	s_cmp_lg_u32 s2, 0
	s_add_co_ci_u32 s2, s23, s25
	v_mul_hi_u32 v13, v5, v4
	s_wait_alu 0xfffe
	v_mad_co_u64_u32 v[7:8], null, v5, s2, 0
	v_mad_co_u64_u32 v[9:10], null, v6, v4, 0
	;; [unrolled: 1-line block ×3, first 2 shown]
	s_delay_alu instid0(VALU_DEP_3) | instskip(SKIP_1) | instid1(VALU_DEP_4)
	v_add_co_u32 v4, vcc_lo, v13, v7
	s_wait_alu 0xfffd
	v_add_co_ci_u32_e32 v7, vcc_lo, 0, v8, vcc_lo
	s_delay_alu instid0(VALU_DEP_2) | instskip(SKIP_1) | instid1(VALU_DEP_2)
	v_add_co_u32 v4, vcc_lo, v4, v9
	s_wait_alu 0xfffd
	v_add_co_ci_u32_e32 v4, vcc_lo, v7, v10, vcc_lo
	s_wait_alu 0xfffd
	v_add_co_ci_u32_e32 v7, vcc_lo, 0, v12, vcc_lo
	s_delay_alu instid0(VALU_DEP_2) | instskip(SKIP_1) | instid1(VALU_DEP_2)
	v_add_co_u32 v4, vcc_lo, v4, v11
	s_wait_alu 0xfffd
	v_add_co_ci_u32_e32 v9, vcc_lo, 0, v7, vcc_lo
	s_delay_alu instid0(VALU_DEP_2) | instskip(SKIP_1) | instid1(VALU_DEP_3)
	v_mul_lo_u32 v10, s19, v4
	v_mad_co_u64_u32 v[7:8], null, s18, v4, 0
	v_mul_lo_u32 v11, s18, v9
	s_delay_alu instid0(VALU_DEP_2) | instskip(NEXT) | instid1(VALU_DEP_2)
	v_sub_co_u32 v7, vcc_lo, v5, v7
	v_add3_u32 v8, v8, v11, v10
	s_delay_alu instid0(VALU_DEP_1) | instskip(SKIP_1) | instid1(VALU_DEP_1)
	v_sub_nc_u32_e32 v10, v6, v8
	s_wait_alu 0xfffd
	v_subrev_co_ci_u32_e64 v10, s2, s19, v10, vcc_lo
	v_add_co_u32 v11, s2, v4, 2
	s_wait_alu 0xf1ff
	v_add_co_ci_u32_e64 v12, s2, 0, v9, s2
	v_sub_co_u32 v13, s2, v7, s18
	v_sub_co_ci_u32_e32 v8, vcc_lo, v6, v8, vcc_lo
	s_wait_alu 0xf1ff
	v_subrev_co_ci_u32_e64 v10, s2, 0, v10, s2
	s_delay_alu instid0(VALU_DEP_3) | instskip(NEXT) | instid1(VALU_DEP_3)
	v_cmp_le_u32_e32 vcc_lo, s18, v13
	v_cmp_eq_u32_e64 s2, s19, v8
	s_wait_alu 0xfffd
	v_cndmask_b32_e64 v13, 0, -1, vcc_lo
	v_cmp_le_u32_e32 vcc_lo, s19, v10
	s_wait_alu 0xfffd
	v_cndmask_b32_e64 v14, 0, -1, vcc_lo
	v_cmp_le_u32_e32 vcc_lo, s18, v7
	;; [unrolled: 3-line block ×3, first 2 shown]
	s_wait_alu 0xfffd
	v_cndmask_b32_e64 v15, 0, -1, vcc_lo
	v_cmp_eq_u32_e32 vcc_lo, s19, v10
	s_wait_alu 0xf1ff
	s_delay_alu instid0(VALU_DEP_2)
	v_cndmask_b32_e64 v7, v15, v7, s2
	s_wait_alu 0xfffd
	v_cndmask_b32_e32 v10, v14, v13, vcc_lo
	v_add_co_u32 v13, vcc_lo, v4, 1
	s_wait_alu 0xfffd
	v_add_co_ci_u32_e32 v14, vcc_lo, 0, v9, vcc_lo
	s_delay_alu instid0(VALU_DEP_3) | instskip(SKIP_2) | instid1(VALU_DEP_3)
	v_cmp_ne_u32_e32 vcc_lo, 0, v10
	s_wait_alu 0xfffd
	v_cndmask_b32_e32 v10, v13, v11, vcc_lo
	v_cndmask_b32_e32 v8, v14, v12, vcc_lo
	v_cmp_ne_u32_e32 vcc_lo, 0, v7
	s_wait_alu 0xfffd
	s_delay_alu instid0(VALU_DEP_2)
	v_dual_cndmask_b32 v7, v4, v10 :: v_dual_cndmask_b32 v8, v9, v8
.LBB0_4:                                ;   in Loop: Header=BB0_2 Depth=1
	s_wait_alu 0xfffe
	s_and_not1_saveexec_b32 s2, s20
	s_cbranch_execz .LBB0_6
; %bb.5:                                ;   in Loop: Header=BB0_2 Depth=1
	v_cvt_f32_u32_e32 v4, s18
	s_sub_co_i32 s20, 0, s18
	s_delay_alu instid0(VALU_DEP_1) | instskip(NEXT) | instid1(TRANS32_DEP_1)
	v_rcp_iflag_f32_e32 v4, v4
	v_mul_f32_e32 v4, 0x4f7ffffe, v4
	s_delay_alu instid0(VALU_DEP_1) | instskip(SKIP_1) | instid1(VALU_DEP_1)
	v_cvt_u32_f32_e32 v4, v4
	s_wait_alu 0xfffe
	v_mul_lo_u32 v7, s20, v4
	s_delay_alu instid0(VALU_DEP_1) | instskip(NEXT) | instid1(VALU_DEP_1)
	v_mul_hi_u32 v7, v4, v7
	v_add_nc_u32_e32 v4, v4, v7
	s_delay_alu instid0(VALU_DEP_1) | instskip(NEXT) | instid1(VALU_DEP_1)
	v_mul_hi_u32 v4, v5, v4
	v_mul_lo_u32 v7, v4, s18
	v_add_nc_u32_e32 v8, 1, v4
	s_delay_alu instid0(VALU_DEP_2) | instskip(NEXT) | instid1(VALU_DEP_1)
	v_sub_nc_u32_e32 v7, v5, v7
	v_subrev_nc_u32_e32 v9, s18, v7
	v_cmp_le_u32_e32 vcc_lo, s18, v7
	s_wait_alu 0xfffd
	s_delay_alu instid0(VALU_DEP_2) | instskip(NEXT) | instid1(VALU_DEP_1)
	v_dual_cndmask_b32 v7, v7, v9 :: v_dual_cndmask_b32 v4, v4, v8
	v_cmp_le_u32_e32 vcc_lo, s18, v7
	s_delay_alu instid0(VALU_DEP_2) | instskip(SKIP_1) | instid1(VALU_DEP_1)
	v_add_nc_u32_e32 v8, 1, v4
	s_wait_alu 0xfffd
	v_dual_cndmask_b32 v7, v4, v8 :: v_dual_mov_b32 v8, v3
.LBB0_6:                                ;   in Loop: Header=BB0_2 Depth=1
	s_wait_alu 0xfffe
	s_or_b32 exec_lo, exec_lo, s2
	s_load_b64 s[20:21], s[12:13], 0x0
	s_delay_alu instid0(VALU_DEP_1)
	v_mul_lo_u32 v4, v8, s18
	v_mul_lo_u32 v11, v7, s19
	v_mad_co_u64_u32 v[9:10], null, v7, s18, 0
	s_add_nc_u64 s[14:15], s[14:15], 1
	s_add_nc_u64 s[12:13], s[12:13], 8
	s_wait_alu 0xfffe
	v_cmp_ge_u64_e64 s2, s[14:15], s[6:7]
	s_add_nc_u64 s[16:17], s[16:17], 8
	s_delay_alu instid0(VALU_DEP_2) | instskip(NEXT) | instid1(VALU_DEP_3)
	v_add3_u32 v4, v10, v11, v4
	v_sub_co_u32 v5, vcc_lo, v5, v9
	s_wait_alu 0xfffd
	s_delay_alu instid0(VALU_DEP_2) | instskip(SKIP_3) | instid1(VALU_DEP_2)
	v_sub_co_ci_u32_e32 v4, vcc_lo, v6, v4, vcc_lo
	s_and_b32 vcc_lo, exec_lo, s2
	s_wait_kmcnt 0x0
	v_mul_lo_u32 v6, s21, v5
	v_mul_lo_u32 v4, s20, v4
	v_mad_co_u64_u32 v[1:2], null, s20, v5, v[1:2]
	s_delay_alu instid0(VALU_DEP_1)
	v_add3_u32 v2, v6, v2, v4
	s_wait_alu 0xfffe
	s_cbranch_vccnz .LBB0_9
; %bb.7:                                ;   in Loop: Header=BB0_2 Depth=1
	v_dual_mov_b32 v5, v7 :: v_dual_mov_b32 v6, v8
	s_branch .LBB0_2
.LBB0_8:
	v_dual_mov_b32 v8, v6 :: v_dual_mov_b32 v7, v5
.LBB0_9:
	s_lshl_b64 s[2:3], s[6:7], 3
	v_mul_hi_u32 v3, 0x4ec4ec5, v0
	s_wait_alu 0xfffe
	s_add_nc_u64 s[2:3], s[10:11], s[2:3]
	s_load_b64 s[2:3], s[2:3], 0x0
	s_load_b64 s[0:1], s[0:1], 0x20
	s_delay_alu instid0(VALU_DEP_1) | instskip(NEXT) | instid1(VALU_DEP_1)
	v_mul_u32_u24_e32 v3, 52, v3
	v_sub_nc_u32_e32 v52, v0, v3
	s_delay_alu instid0(VALU_DEP_1)
	v_lshl_add_u32 v68, v52, 4, 0
	s_wait_kmcnt 0x0
	v_mul_lo_u32 v4, s2, v8
	v_mul_lo_u32 v5, s3, v7
	v_mad_co_u64_u32 v[1:2], null, s2, v7, v[1:2]
	v_cmp_gt_u64_e32 vcc_lo, s[0:1], v[7:8]
	s_delay_alu instid0(VALU_DEP_2) | instskip(NEXT) | instid1(VALU_DEP_1)
	v_add3_u32 v2, v5, v2, v4
	v_lshlrev_b64_e32 v[54:55], 4, v[1:2]
	s_and_saveexec_b32 s1, vcc_lo
	s_cbranch_execz .LBB0_11
; %bb.10:
	v_mov_b32_e32 v53, 0
	s_delay_alu instid0(VALU_DEP_2) | instskip(SKIP_2) | instid1(VALU_DEP_3)
	v_add_co_u32 v2, s0, s8, v54
	s_wait_alu 0xf1ff
	v_add_co_ci_u32_e64 v3, s0, s9, v55, s0
	v_lshlrev_b64_e32 v[0:1], 4, v[52:53]
	s_delay_alu instid0(VALU_DEP_1) | instskip(SKIP_1) | instid1(VALU_DEP_2)
	v_add_co_u32 v44, s0, v2, v0
	s_wait_alu 0xf1ff
	v_add_co_ci_u32_e64 v45, s0, v3, v1, s0
	s_clause 0xb
	global_load_b128 v[0:3], v[44:45], off
	global_load_b128 v[4:7], v[44:45], off offset:832
	global_load_b128 v[8:11], v[44:45], off offset:1664
	;; [unrolled: 1-line block ×11, first 2 shown]
	s_wait_loadcnt 0xb
	ds_store_b128 v68, v[0:3]
	s_wait_loadcnt 0xa
	ds_store_b128 v68, v[4:7] offset:832
	s_wait_loadcnt 0x9
	ds_store_b128 v68, v[8:11] offset:1664
	;; [unrolled: 2-line block ×11, first 2 shown]
.LBB0_11:
	s_wait_alu 0xfffe
	s_or_b32 exec_lo, exec_lo, s1
	global_wb scope:SCOPE_SE
	s_wait_dscnt 0x0
	s_barrier_signal -1
	s_barrier_wait -1
	global_inv scope:SCOPE_SE
	ds_load_b128 v[16:19], v68
	ds_load_b128 v[48:51], v68 offset:768
	ds_load_b128 v[40:43], v68 offset:1536
	;; [unrolled: 1-line block ×12, first 2 shown]
	s_mov_b32 s33, exec_lo
	global_wb scope:SCOPE_SE
	s_wait_dscnt 0x0
	s_barrier_signal -1
	s_barrier_wait -1
	global_inv scope:SCOPE_SE
	v_cmpx_gt_u32_e32 48, v52
	s_cbranch_execz .LBB0_13
; %bb.12:
	v_add_f64_e32 v[56:57], v[18:19], v[50:51]
	v_add_f64_e32 v[58:59], v[16:17], v[48:49]
	v_add_f64_e32 v[83:84], v[38:39], v[14:15]
	v_add_f64_e64 v[85:86], v[36:37], -v[12:13]
	v_add_f64_e32 v[87:88], v[36:37], v[12:13]
	v_add_f64_e64 v[89:90], v[38:39], -v[14:15]
	v_add_f64_e32 v[69:70], v[50:51], v[2:3]
	v_add_f64_e64 v[71:72], v[50:51], -v[2:3]
	v_add_f64_e64 v[66:67], v[48:49], -v[0:1]
	v_add_f64_e32 v[77:78], v[48:49], v[0:1]
	v_add_f64_e32 v[79:80], v[42:43], v[6:7]
	;; [unrolled: 1-line block ×4, first 2 shown]
	v_add_f64_e64 v[81:82], v[42:43], -v[6:7]
	s_mov_b32 s6, 0xebaa3ed8
	s_mov_b32 s12, 0x66966769
	;; [unrolled: 1-line block ×24, first 2 shown]
	v_add_f64_e32 v[62:63], v[56:57], v[42:43]
	v_add_f64_e32 v[58:59], v[58:59], v[40:41]
	v_add_f64_e64 v[42:43], v[34:35], -v[22:23]
	s_mov_b32 s35, 0xbfedeba7
	s_mov_b32 s29, 0xbfe5384d
	;; [unrolled: 1-line block ×3, first 2 shown]
	s_wait_alu 0xfffe
	s_mov_b32 s22, s18
	s_mov_b32 s28, s24
	;; [unrolled: 1-line block ×3, first 2 shown]
	v_add_f64_e32 v[60:61], v[30:31], v[26:27]
	v_add_f64_e64 v[56:57], v[28:29], -v[24:25]
	v_add_f64_e32 v[50:51], v[28:29], v[24:25]
	v_add_f64_e32 v[91:92], v[46:47], v[10:11]
	v_mul_f64_e32 v[97:98], s[0:1], v[69:70]
	v_mul_f64_e32 v[99:100], s[6:7], v[69:70]
	v_mul_f64_e32 v[101:102], s[16:17], v[69:70]
	s_wait_alu 0xfffe
	v_mul_f64_e32 v[103:104], s[22:23], v[71:72]
	v_mul_f64_e32 v[105:106], s[28:29], v[71:72]
	;; [unrolled: 1-line block ×6, first 2 shown]
	s_mov_b32 s37, 0x3fefc445
	s_mov_b32 s41, 0x3fea55e2
	;; [unrolled: 1-line block ×6, first 2 shown]
	v_add_f64_e64 v[93:94], v[44:45], -v[8:9]
	v_add_f64_e64 v[95:96], v[40:41], -v[4:5]
	v_add_f64_e32 v[40:41], v[40:41], v[4:5]
	v_mul_f64_e32 v[113:114], s[14:15], v[79:80]
	v_mul_f64_e32 v[115:116], s[6:7], v[79:80]
	;; [unrolled: 1-line block ×7, first 2 shown]
	v_add_f64_e32 v[73:74], v[62:63], v[46:47]
	v_add_f64_e32 v[75:76], v[58:59], v[44:45]
	v_add_f64_e64 v[62:63], v[32:33], -v[20:21]
	v_add_f64_e64 v[58:59], v[30:31], -v[26:27]
	;; [unrolled: 1-line block ×3, first 2 shown]
	v_add_f64_e32 v[44:45], v[44:45], v[8:9]
	v_mul_f64_e32 v[125:126], s[36:37], v[81:82]
	v_mul_f64_e32 v[127:128], s[24:25], v[81:82]
	;; [unrolled: 1-line block ×14, first 2 shown]
	v_fma_f64 v[163:164], v[66:67], s[30:31], v[97:98]
	v_fma_f64 v[97:98], v[66:67], s[34:35], v[97:98]
	;; [unrolled: 1-line block ×7, first 2 shown]
	v_fma_f64 v[105:106], v[77:78], s[10:11], -v[105:106]
	v_fma_f64 v[173:174], v[77:78], s[0:1], v[107:108]
	v_fma_f64 v[107:108], v[77:78], s[0:1], -v[107:108]
	v_fma_f64 v[175:176], v[77:78], s[6:7], v[109:110]
	;; [unrolled: 2-line block ×5, first 2 shown]
	v_fma_f64 v[115:116], v[95:96], s[36:37], v[115:116]
	v_add_f64_e32 v[38:39], v[73:74], v[38:39]
	v_add_f64_e32 v[36:37], v[75:76], v[36:37]
	v_mul_f64_e32 v[73:74], s[2:3], v[69:70]
	v_mul_f64_e32 v[75:76], s[10:11], v[69:70]
	;; [unrolled: 1-line block ×9, first 2 shown]
	v_fma_f64 v[183:184], v[95:96], s[28:29], v[117:118]
	v_fma_f64 v[117:118], v[95:96], s[24:25], v[117:118]
	;; [unrolled: 1-line block ×5, first 2 shown]
	v_fma_f64 v[125:126], v[40:41], s[6:7], -v[125:126]
	v_fma_f64 v[189:190], v[40:41], s[10:11], v[127:128]
	v_fma_f64 v[127:128], v[40:41], s[10:11], -v[127:128]
	v_fma_f64 v[191:192], v[40:41], s[2:3], v[129:130]
	;; [unrolled: 2-line block ×4, first 2 shown]
	v_fma_f64 v[197:198], v[93:94], s[40:41], v[135:136]
	v_fma_f64 v[135:136], v[93:94], s[26:27], v[135:136]
	;; [unrolled: 1-line block ×10, first 2 shown]
	v_add_f64_e32 v[171:172], v[16:17], v[171:172]
	v_add_f64_e32 v[105:106], v[16:17], v[105:106]
	;; [unrolled: 1-line block ×6, first 2 shown]
	v_mul_f64_e32 v[36:37], s[16:17], v[83:84]
	v_mul_f64_e32 v[38:39], s[2:3], v[83:84]
	;; [unrolled: 1-line block ×3, first 2 shown]
	v_fma_f64 v[159:160], v[66:67], s[18:19], v[73:74]
	v_fma_f64 v[73:74], v[66:67], s[22:23], v[73:74]
	;; [unrolled: 1-line block ×7, first 2 shown]
	v_fma_f64 v[103:104], v[77:78], s[2:3], -v[103:104]
	v_fma_f64 v[77:78], v[95:96], s[20:21], v[113:114]
	v_fma_f64 v[113:114], v[95:96], s[38:39], v[113:114]
	;; [unrolled: 1-line block ×3, first 2 shown]
	v_fma_f64 v[145:146], v[44:45], s[16:17], -v[145:146]
	v_fma_f64 v[209:210], v[44:45], s[14:15], v[147:148]
	v_fma_f64 v[147:148], v[44:45], s[14:15], -v[147:148]
	v_fma_f64 v[211:212], v[44:45], s[6:7], v[46:47]
	v_add_f64_e32 v[97:98], v[18:19], v[97:98]
	v_add_f64_e32 v[107:108], v[16:17], v[107:108]
	;; [unrolled: 1-line block ×11, first 2 shown]
	v_mul_f64_e32 v[215:216], s[18:19], v[89:90]
	v_mul_f64_e32 v[217:218], s[12:13], v[89:90]
	;; [unrolled: 1-line block ×4, first 2 shown]
	v_add_f64_e32 v[105:106], v[125:126], v[105:106]
	v_mul_f64_e32 v[125:126], s[2:3], v[64:65]
	v_mad_u32_u24 v53, 0xc0, v52, v68
	v_add_f64_e32 v[30:31], v[34:35], v[30:31]
	v_add_f64_e32 v[28:29], v[32:33], v[28:29]
	v_fma_f64 v[32:33], v[95:96], s[18:19], v[119:120]
	v_fma_f64 v[34:35], v[95:96], s[22:23], v[119:120]
	;; [unrolled: 1-line block ×5, first 2 shown]
	v_fma_f64 v[123:124], v[40:41], s[14:15], -v[123:124]
	v_fma_f64 v[40:41], v[40:41], s[16:17], -v[81:82]
	v_fma_f64 v[81:82], v[93:94], s[24:25], v[133:134]
	v_fma_f64 v[133:134], v[93:94], s[28:29], v[133:134]
	;; [unrolled: 1-line block ×3, first 2 shown]
	v_fma_f64 v[143:144], v[44:45], s[10:11], -v[143:144]
	v_add_f64_e32 v[159:160], v[18:19], v[159:160]
	v_add_f64_e32 v[69:70], v[16:17], v[69:70]
	;; [unrolled: 1-line block ×9, first 2 shown]
	v_fma_f64 v[66:67], v[85:86], s[22:23], v[38:39]
	v_fma_f64 v[38:39], v[85:86], s[18:19], v[38:39]
	;; [unrolled: 1-line block ×6, first 2 shown]
	v_add_f64_e32 v[97:98], v[117:118], v[97:98]
	v_add_f64_e32 v[109:110], v[129:130], v[109:110]
	;; [unrolled: 1-line block ×3, first 2 shown]
	v_fma_f64 v[225:226], v[87:88], s[2:3], v[215:216]
	v_fma_f64 v[215:216], v[87:88], s[2:3], -v[215:216]
	v_fma_f64 v[227:228], v[87:88], s[6:7], v[217:218]
	v_fma_f64 v[217:218], v[87:88], s[6:7], -v[217:218]
	;; [unrolled: 2-line block ×3, first 2 shown]
	v_fma_f64 v[231:232], v[87:88], s[10:11], v[221:222]
	v_add_f64_e32 v[26:27], v[30:31], v[26:27]
	v_add_f64_e32 v[24:25], v[28:29], v[24:25]
	v_fma_f64 v[28:29], v[44:45], s[0:1], v[149:150]
	v_fma_f64 v[30:31], v[44:45], s[0:1], -v[149:150]
	v_fma_f64 v[149:150], v[44:45], s[2:3], v[151:152]
	v_fma_f64 v[151:152], v[44:45], s[2:3], -v[151:152]
	v_fma_f64 v[44:45], v[44:45], s[6:7], -v[46:47]
	v_fma_f64 v[46:47], v[85:86], s[26:27], v[36:37]
	v_fma_f64 v[36:37], v[85:86], s[40:41], v[36:37]
	v_fma_f64 v[221:222], v[87:88], s[10:11], -v[221:222]
	v_add_f64_e32 v[32:33], v[32:33], v[165:166]
	v_add_f64_e32 v[34:35], v[34:35], v[99:100]
	;; [unrolled: 1-line block ×17, first 2 shown]
	v_mul_f64_e32 v[159:160], s[16:17], v[64:65]
	v_mul_f64_e32 v[99:100], s[6:7], v[64:65]
	v_mul_f64_e32 v[129:130], s[34:35], v[42:43]
	v_mul_f64_e32 v[161:162], s[38:39], v[42:43]
	v_mul_f64_e32 v[121:122], s[26:27], v[42:43]
	v_mul_f64_e32 v[131:132], s[36:37], v[42:43]
	v_add_f64_e32 v[97:98], v[137:138], v[97:98]
	v_add_f64_e32 v[105:106], v[145:146], v[105:106]
	v_mul_f64_e32 v[165:166], s[18:19], v[42:43]
	v_mul_f64_e32 v[117:118], s[0:1], v[64:65]
	;; [unrolled: 1-line block ×3, first 2 shown]
	v_add_f64_e32 v[22:23], v[26:27], v[22:23]
	v_add_f64_e32 v[20:21], v[24:25], v[20:21]
	v_fma_f64 v[24:25], v[85:86], s[20:21], v[155:156]
	v_fma_f64 v[26:27], v[85:86], s[38:39], v[155:156]
	v_fma_f64 v[155:156], v[85:86], s[28:29], v[157:158]
	v_fma_f64 v[157:158], v[85:86], s[24:25], v[157:158]
	v_mul_f64_e32 v[85:86], s[40:41], v[89:90]
	v_mul_f64_e32 v[89:90], s[34:35], v[89:90]
	v_add_f64_e32 v[30:31], v[30:31], v[109:110]
	v_add_f64_e32 v[111:112], v[151:152], v[111:112]
	v_mul_f64_e32 v[79:80], s[0:1], v[60:61]
	v_mul_f64_e32 v[40:41], s[34:35], v[58:59]
	v_add_f64_e32 v[101:102], v[141:142], v[101:102]
	v_add_f64_e32 v[77:78], v[81:82], v[77:78]
	;; [unrolled: 1-line block ×7, first 2 shown]
	v_mul_f64_e32 v[133:134], s[14:15], v[60:61]
	v_add_f64_e32 v[28:29], v[28:29], v[127:128]
	v_add_f64_e32 v[119:120], v[203:204], v[119:120]
	;; [unrolled: 1-line block ×4, first 2 shown]
	v_mul_f64_e32 v[81:82], s[16:17], v[60:61]
	v_add_f64_e32 v[18:19], v[91:92], v[18:19]
	v_add_f64_e32 v[16:17], v[44:45], v[16:17]
	v_fma_f64 v[109:110], v[62:63], s[26:27], v[159:160]
	v_fma_f64 v[91:92], v[62:63], s[36:37], v[99:100]
	;; [unrolled: 1-line block ×3, first 2 shown]
	v_fma_f64 v[129:130], v[48:49], s[0:1], -v[129:130]
	v_fma_f64 v[135:136], v[48:49], s[14:15], v[161:162]
	v_mul_f64_e32 v[93:94], s[10:11], v[60:61]
	v_fma_f64 v[141:142], v[48:49], s[14:15], -v[161:162]
	v_fma_f64 v[149:150], v[48:49], s[16:17], v[121:122]
	v_mul_f64_e32 v[169:170], s[6:7], v[60:61]
	v_mul_f64_e32 v[173:174], s[36:37], v[58:59]
	v_fma_f64 v[175:176], v[62:63], s[30:31], v[117:118]
	v_add_f64_e32 v[14:15], v[22:23], v[14:15]
	v_add_f64_e32 v[22:23], v[201:202], v[32:33]
	;; [unrolled: 1-line block ×6, first 2 shown]
	v_fma_f64 v[223:224], v[87:88], s[16:17], v[85:86]
	v_fma_f64 v[85:86], v[87:88], s[16:17], -v[85:86]
	v_fma_f64 v[233:234], v[87:88], s[0:1], v[89:90]
	v_fma_f64 v[87:88], v[87:88], s[0:1], -v[89:90]
	v_add_f64_e32 v[89:90], v[123:124], v[103:104]
	v_add_f64_e32 v[103:104], v[187:188], v[171:172]
	;; [unrolled: 1-line block ×3, first 2 shown]
	v_mul_f64_e32 v[123:124], s[14:15], v[64:65]
	v_mul_f64_e32 v[64:65], s[10:11], v[64:65]
	v_fma_f64 v[107:108], v[62:63], s[22:23], v[125:126]
	v_add_f64_e32 v[46:47], v[46:47], v[77:78]
	v_add_f64_e32 v[36:37], v[36:37], v[73:74]
	;; [unrolled: 1-line block ×11, first 2 shown]
	v_fma_f64 v[147:148], v[48:49], s[2:3], -v[165:166]
	v_fma_f64 v[117:118], v[62:63], s[34:35], v[117:118]
	v_fma_f64 v[145:146], v[48:49], s[2:3], v[165:166]
	v_mul_f64_e32 v[60:61], s[2:3], v[60:61]
	v_add_f64_e32 v[18:19], v[83:84], v[18:19]
	v_add_f64_e32 v[10:11], v[14:15], v[10:11]
	;; [unrolled: 1-line block ×4, first 2 shown]
	v_mul_f64_e32 v[24:25], s[38:39], v[58:59]
	v_fma_f64 v[32:33], v[48:49], s[16:17], -v[121:122]
	v_add_f64_e32 v[8:9], v[12:13], v[8:9]
	v_add_f64_e32 v[69:70], v[223:224], v[69:70]
	;; [unrolled: 1-line block ×4, first 2 shown]
	v_mul_f64_e32 v[26:27], s[28:29], v[58:59]
	v_add_f64_e32 v[89:90], v[143:144], v[89:90]
	v_add_f64_e32 v[103:104], v[207:208], v[103:104]
	;; [unrolled: 1-line block ×3, first 2 shown]
	v_fma_f64 v[177:178], v[62:63], s[20:21], v[123:124]
	v_fma_f64 v[34:35], v[62:63], s[38:39], v[123:124]
	;; [unrolled: 1-line block ×6, first 2 shown]
	v_mul_f64_e32 v[143:144], s[40:41], v[58:59]
	v_add_f64_e32 v[113:114], v[213:214], v[139:140]
	v_mul_f64_e32 v[58:59], s[22:23], v[58:59]
	v_add_f64_e32 v[16:17], v[87:88], v[16:17]
	v_add_f64_e32 v[46:47], v[175:176], v[46:47]
	;; [unrolled: 1-line block ×4, first 2 shown]
	v_fma_f64 v[119:120], v[56:57], s[18:19], v[60:61]
	v_add_f64_e32 v[83:84], v[10:11], v[6:7]
	v_fma_f64 v[10:11], v[56:57], s[36:37], v[169:170]
	v_add_f64_e32 v[109:110], v[109:110], v[22:23]
	v_fma_f64 v[22:23], v[56:57], s[34:35], v[79:80]
	v_fma_f64 v[121:122], v[50:51], s[14:15], v[24:25]
	v_add_f64_e32 v[87:88], v[147:148], v[12:13]
	v_add_f64_e32 v[107:108], v[149:150], v[20:21]
	v_fma_f64 v[20:21], v[50:51], s[0:1], v[40:41]
	v_add_f64_e32 v[73:74], v[85:86], v[89:90]
	v_add_f64_e32 v[77:78], v[225:226], v[103:104]
	;; [unrolled: 1-line block ×3, first 2 shown]
	v_fma_f64 v[103:104], v[48:49], s[6:7], -v[131:132]
	v_add_f64_e32 v[85:86], v[227:228], v[115:116]
	v_fma_f64 v[97:98], v[62:63], s[24:25], v[64:65]
	v_fma_f64 v[62:63], v[62:63], s[28:29], v[64:65]
	v_fma_f64 v[64:65], v[48:49], s[10:11], -v[42:43]
	v_fma_f64 v[42:43], v[48:49], s[10:11], v[42:43]
	v_add_f64_e32 v[44:45], v[233:234], v[44:45]
	v_add_f64_e32 v[48:49], v[127:128], v[69:70]
	;; [unrolled: 1-line block ×5, first 2 shown]
	v_fma_f64 v[101:102], v[56:57], s[38:39], v[133:134]
	v_add_f64_e32 v[38:39], v[141:142], v[75:76]
	v_add_f64_e32 v[95:96], v[28:29], v[95:96]
	v_fma_f64 v[28:29], v[50:51], s[0:1], -v[40:41]
	v_add_f64_e32 v[40:41], v[99:100], v[105:106]
	v_fma_f64 v[30:31], v[56:57], s[26:27], v[81:82]
	v_fma_f64 v[99:100], v[56:57], s[24:25], v[93:94]
	;; [unrolled: 1-line block ×3, first 2 shown]
	v_fma_f64 v[105:106], v[50:51], s[10:11], -v[26:27]
	v_fma_f64 v[81:82], v[56:57], s[40:41], v[81:82]
	v_fma_f64 v[12:13], v[50:51], s[6:7], -v[173:174]
	v_add_f64_e32 v[66:67], v[177:178], v[66:67]
	v_fma_f64 v[117:118], v[50:51], s[10:11], v[26:27]
	v_add_f64_e32 v[2:3], v[83:84], v[2:3]
	v_add_f64_e32 v[10:11], v[10:11], v[36:37]
	;; [unrolled: 1-line block ×6, first 2 shown]
	v_fma_f64 v[14:15], v[56:57], s[30:31], v[79:80]
	v_add_f64_e32 v[79:80], v[103:104], v[111:112]
	v_fma_f64 v[103:104], v[50:51], s[14:15], -v[24:25]
	v_fma_f64 v[111:112], v[50:51], s[16:17], -v[143:144]
	v_add_f64_e32 v[75:76], v[145:146], v[85:86]
	v_add_f64_e32 v[85:86], v[8:9], v[4:5]
	v_fma_f64 v[4:5], v[56:57], s[12:13], v[169:170]
	v_fma_f64 v[8:9], v[50:51], s[6:7], v[173:174]
	v_add_f64_e32 v[91:92], v[97:98], v[113:114]
	v_fma_f64 v[97:98], v[50:51], s[16:17], v[143:144]
	v_fma_f64 v[113:114], v[56:57], s[20:21], v[133:134]
	;; [unrolled: 1-line block ×3, first 2 shown]
	v_add_f64_e32 v[60:61], v[62:63], v[18:19]
	v_add_f64_e32 v[62:63], v[64:65], v[16:17]
	v_fma_f64 v[64:65], v[50:51], s[2:3], -v[58:59]
	v_fma_f64 v[58:59], v[50:51], s[2:3], v[58:59]
	v_add_f64_e32 v[44:45], v[42:43], v[44:45]
	v_add_f64_e32 v[18:19], v[22:23], v[34:35]
	;; [unrolled: 1-line block ×25, first 2 shown]
	ds_store_b128 v53, v[32:35] offset:32
	ds_store_b128 v53, v[28:31] offset:48
	;; [unrolled: 1-line block ×11, first 2 shown]
	ds_store_b128 v53, v[0:3]
	ds_store_b128 v53, v[44:47] offset:192
.LBB0_13:
	s_or_b32 exec_lo, exec_lo, s33
	v_and_b32_e32 v0, 0xff, v52
	v_add_nc_u16 v1, v52, 52
	v_add_nc_u16 v3, v52, 0x68
	global_wb scope:SCOPE_SE
	s_wait_dscnt 0x0
	s_barrier_signal -1
	v_mul_lo_u16 v0, 0x4f, v0
	v_and_b32_e32 v2, 0xff, v1
	s_barrier_wait -1
	global_inv scope:SCOPE_SE
	s_mov_b32 s0, 0xe8584caa
	v_lshrrev_b16 v53, 10, v0
	v_mul_lo_u16 v0, 0x4f, v2
	v_and_b32_e32 v2, 0xff, v3
	s_mov_b32 s1, 0x3febb67a
	s_mov_b32 s3, 0xbfebb67a
	v_mul_lo_u16 v4, v53, 13
	v_lshrrev_b16 v99, 10, v0
	v_mul_lo_u16 v0, 0x4f, v2
	s_wait_alu 0xfffe
	s_mov_b32 s2, s0
	v_sub_nc_u16 v2, v52, v4
	v_mul_lo_u16 v4, v99, 13
	v_lshrrev_b16 v100, 10, v0
	s_delay_alu instid0(VALU_DEP_3) | instskip(NEXT) | instid1(VALU_DEP_3)
	v_and_b32_e32 v101, 0xff, v2
	v_sub_nc_u16 v0, v1, v4
	s_delay_alu instid0(VALU_DEP_3) | instskip(NEXT) | instid1(VALU_DEP_3)
	v_mul_lo_u16 v1, v100, 13
	v_mul_u32_u24_e32 v2, 3, v101
	s_delay_alu instid0(VALU_DEP_3) | instskip(NEXT) | instid1(VALU_DEP_3)
	v_and_b32_e32 v102, 0xff, v0
	v_sub_nc_u16 v0, v3, v1
	s_delay_alu instid0(VALU_DEP_3) | instskip(NEXT) | instid1(VALU_DEP_3)
	v_lshlrev_b32_e32 v8, 4, v2
	v_mul_u32_u24_e32 v9, 3, v102
	s_delay_alu instid0(VALU_DEP_3)
	v_and_b32_e32 v103, 0xff, v0
	s_clause 0x1
	global_load_b128 v[0:3], v8, s[4:5] offset:16
	global_load_b128 v[4:7], v8, s[4:5]
	v_lshlrev_b32_e32 v20, 4, v9
	v_mul_u32_u24_e32 v16, 3, v103
	s_clause 0x1
	global_load_b128 v[8:11], v8, s[4:5] offset:32
	global_load_b128 v[12:15], v20, s[4:5]
	v_lshlrev_b32_e32 v32, 4, v16
	s_clause 0x4
	global_load_b128 v[16:19], v20, s[4:5] offset:16
	global_load_b128 v[20:23], v20, s[4:5] offset:32
	global_load_b128 v[24:27], v32, s[4:5]
	global_load_b128 v[28:31], v32, s[4:5] offset:16
	global_load_b128 v[32:35], v32, s[4:5] offset:32
	ds_load_b128 v[36:39], v68 offset:2496
	ds_load_b128 v[40:43], v68 offset:4992
	ds_load_b128 v[44:47], v68 offset:7488
	ds_load_b128 v[48:51], v68 offset:3328
	ds_load_b128 v[56:59], v68 offset:5824
	ds_load_b128 v[60:63], v68 offset:8320
	ds_load_b128 v[64:67], v68 offset:4160
	ds_load_b128 v[69:72], v68 offset:6656
	ds_load_b128 v[73:76], v68 offset:9152
	ds_load_b128 v[77:80], v68 offset:1664
	s_wait_loadcnt_dscnt 0x808
	v_mul_f64_e32 v[83:84], v[42:43], v[2:3]
	s_wait_loadcnt 0x7
	v_mul_f64_e32 v[81:82], v[38:39], v[6:7]
	v_mul_f64_e32 v[6:7], v[36:37], v[6:7]
	;; [unrolled: 1-line block ×3, first 2 shown]
	s_wait_loadcnt_dscnt 0x607
	v_mul_f64_e32 v[85:86], v[46:47], v[10:11]
	v_mul_f64_e32 v[10:11], v[44:45], v[10:11]
	s_wait_loadcnt_dscnt 0x506
	v_mul_f64_e32 v[87:88], v[50:51], v[14:15]
	v_mul_f64_e32 v[14:15], v[48:49], v[14:15]
	;; [unrolled: 3-line block ×7, first 2 shown]
	v_fma_f64 v[40:41], v[40:41], v[0:1], -v[83:84]
	v_fma_f64 v[36:37], v[36:37], v[4:5], -v[81:82]
	v_fma_f64 v[38:39], v[38:39], v[4:5], v[6:7]
	v_fma_f64 v[42:43], v[42:43], v[0:1], v[2:3]
	ds_load_b128 v[0:3], v68
	ds_load_b128 v[4:7], v68 offset:832
	v_fma_f64 v[44:45], v[44:45], v[8:9], -v[85:86]
	v_fma_f64 v[8:9], v[46:47], v[8:9], v[10:11]
	v_fma_f64 v[10:11], v[48:49], v[12:13], -v[87:88]
	v_fma_f64 v[12:13], v[50:51], v[12:13], v[14:15]
	;; [unrolled: 2-line block ×7, first 2 shown]
	global_wb scope:SCOPE_SE
	s_wait_dscnt 0x0
	s_barrier_signal -1
	s_barrier_wait -1
	global_inv scope:SCOPE_SE
	v_add_f64_e64 v[34:35], v[0:1], -v[40:41]
	v_add_f64_e64 v[40:41], v[2:3], -v[42:43]
	;; [unrolled: 1-line block ×12, first 2 shown]
	v_fma_f64 v[30:31], v[0:1], 2.0, -v[34:35]
	v_fma_f64 v[56:57], v[2:3], 2.0, -v[40:41]
	v_fma_f64 v[20:21], v[36:37], 2.0, -v[42:43]
	v_fma_f64 v[28:29], v[38:39], 2.0, -v[8:9]
	v_add_f64_e64 v[0:1], v[34:35], -v[8:9]
	v_add_f64_e32 v[2:3], v[40:41], v[42:43]
	v_fma_f64 v[38:39], v[4:5], 2.0, -v[44:45]
	v_fma_f64 v[58:59], v[6:7], 2.0, -v[46:47]
	v_fma_f64 v[32:33], v[10:11], 2.0, -v[14:15]
	v_fma_f64 v[36:37], v[12:13], 2.0, -v[16:17]
	v_add_f64_e64 v[4:5], v[44:45], -v[16:17]
	v_add_f64_e32 v[6:7], v[46:47], v[14:15]
	v_fma_f64 v[60:61], v[77:78], 2.0, -v[48:49]
	v_fma_f64 v[62:63], v[79:80], 2.0, -v[50:51]
	v_fma_f64 v[22:23], v[22:23], 2.0, -v[26:27]
	v_fma_f64 v[24:25], v[24:25], 2.0, -v[18:19]
	v_add_f64_e64 v[12:13], v[48:49], -v[18:19]
	v_add_f64_e32 v[14:15], v[50:51], v[26:27]
	v_add_f64_e64 v[8:9], v[30:31], -v[20:21]
	v_add_f64_e64 v[10:11], v[56:57], -v[28:29]
	v_fma_f64 v[26:27], v[40:41], 2.0, -v[2:3]
	v_add_f64_e64 v[16:17], v[38:39], -v[32:33]
	v_add_f64_e64 v[18:19], v[58:59], -v[36:37]
	v_fma_f64 v[28:29], v[44:45], 2.0, -v[4:5]
	;; [unrolled: 3-line block ×3, first 2 shown]
	v_fma_f64 v[36:37], v[48:49], 2.0, -v[12:13]
	v_and_b32_e32 v48, 0xffff, v53
	v_and_b32_e32 v49, 0xffff, v99
	v_lshlrev_b32_e32 v53, 4, v101
	s_delay_alu instid0(VALU_DEP_3) | instskip(NEXT) | instid1(VALU_DEP_3)
	v_mul_u32_u24_e32 v48, 0x340, v48
	v_mul_u32_u24_e32 v49, 0x340, v49
	s_delay_alu instid0(VALU_DEP_2)
	v_add3_u32 v48, 0, v48, v53
	v_mov_b32_e32 v53, 0
	v_fma_f64 v[32:33], v[30:31], 2.0, -v[8:9]
	v_fma_f64 v[34:35], v[56:57], 2.0, -v[10:11]
	;; [unrolled: 1-line block ×3, first 2 shown]
	v_lshlrev_b32_e32 v56, 4, v102
	v_lshlrev_b32_e32 v57, 4, v103
	v_fma_f64 v[40:41], v[38:39], 2.0, -v[16:17]
	v_fma_f64 v[42:43], v[58:59], 2.0, -v[18:19]
	v_fma_f64 v[38:39], v[50:51], 2.0, -v[14:15]
	v_and_b32_e32 v50, 0xffff, v100
	v_mul_u32_u24_e32 v51, 5, v52
	v_add3_u32 v49, 0, v49, v56
	v_fma_f64 v[44:45], v[60:61], 2.0, -v[20:21]
	v_fma_f64 v[46:47], v[62:63], 2.0, -v[22:23]
	v_mul_u32_u24_e32 v50, 0x340, v50
	v_lshlrev_b32_e32 v51, 4, v51
	s_delay_alu instid0(VALU_DEP_2)
	v_add3_u32 v50, 0, v50, v57
	ds_store_b128 v48, v[8:11] offset:416
	ds_store_b128 v48, v[0:3] offset:624
	ds_store_b128 v48, v[32:35]
	ds_store_b128 v48, v[24:27] offset:208
	ds_store_b128 v49, v[16:19] offset:416
	ds_store_b128 v49, v[4:7] offset:624
	ds_store_b128 v49, v[40:43]
	ds_store_b128 v49, v[28:31] offset:208
	ds_store_b128 v50, v[44:47]
	ds_store_b128 v50, v[36:39] offset:208
	ds_store_b128 v50, v[20:23] offset:416
	ds_store_b128 v50, v[12:15] offset:624
	global_wb scope:SCOPE_SE
	s_wait_dscnt 0x0
	s_barrier_signal -1
	s_barrier_wait -1
	global_inv scope:SCOPE_SE
	s_clause 0x4
	global_load_b128 v[0:3], v51, s[4:5] offset:656
	global_load_b128 v[4:7], v51, s[4:5] offset:688
	;; [unrolled: 1-line block ×5, first 2 shown]
	ds_load_b128 v[20:23], v68 offset:4992
	ds_load_b128 v[24:27], v68 offset:8320
	;; [unrolled: 1-line block ×6, first 2 shown]
	s_wait_loadcnt_dscnt 0x405
	v_mul_f64_e32 v[44:45], v[22:23], v[2:3]
	v_mul_f64_e32 v[46:47], v[20:21], v[2:3]
	s_wait_loadcnt_dscnt 0x304
	v_mul_f64_e32 v[48:49], v[24:25], v[6:7]
	v_mul_f64_e32 v[50:51], v[26:27], v[6:7]
	s_wait_dscnt 0x3
	v_mul_f64_e32 v[56:57], v[30:31], v[2:3]
	v_mul_f64_e32 v[2:3], v[28:29], v[2:3]
	s_wait_dscnt 0x2
	v_mul_f64_e32 v[58:59], v[32:33], v[6:7]
	v_mul_f64_e32 v[6:7], v[34:35], v[6:7]
	s_wait_loadcnt_dscnt 0x201
	v_mul_f64_e32 v[60:61], v[38:39], v[10:11]
	v_mul_f64_e32 v[62:63], v[36:37], v[10:11]
	s_wait_dscnt 0x0
	v_mul_f64_e32 v[64:65], v[42:43], v[10:11]
	v_mul_f64_e32 v[10:11], v[40:41], v[10:11]
	v_fma_f64 v[44:45], v[20:21], v[0:1], -v[44:45]
	v_fma_f64 v[46:47], v[22:23], v[0:1], v[46:47]
	v_fma_f64 v[48:49], v[26:27], v[4:5], v[48:49]
	v_fma_f64 v[50:51], v[24:25], v[4:5], -v[50:51]
	v_fma_f64 v[28:29], v[28:29], v[0:1], -v[56:57]
	v_fma_f64 v[30:31], v[30:31], v[0:1], v[2:3]
	v_fma_f64 v[34:35], v[34:35], v[4:5], v[58:59]
	v_fma_f64 v[32:33], v[32:33], v[4:5], -v[6:7]
	ds_load_b128 v[0:3], v68 offset:3328
	ds_load_b128 v[4:7], v68 offset:6656
	;; [unrolled: 1-line block ×4, first 2 shown]
	v_fma_f64 v[36:37], v[36:37], v[8:9], -v[60:61]
	v_fma_f64 v[38:39], v[38:39], v[8:9], v[62:63]
	v_fma_f64 v[40:41], v[40:41], v[8:9], -v[64:65]
	v_fma_f64 v[8:9], v[42:43], v[8:9], v[10:11]
	s_wait_loadcnt_dscnt 0x103
	v_mul_f64_e32 v[56:57], v[2:3], v[14:15]
	v_mul_f64_e32 v[58:59], v[0:1], v[14:15]
	s_wait_loadcnt_dscnt 0x2
	v_mul_f64_e32 v[66:67], v[6:7], v[18:19]
	v_mul_f64_e32 v[69:70], v[4:5], v[18:19]
	s_wait_dscnt 0x1
	v_mul_f64_e32 v[71:72], v[22:23], v[14:15]
	v_mul_f64_e32 v[14:15], v[20:21], v[14:15]
	s_wait_dscnt 0x0
	v_mul_f64_e32 v[73:74], v[26:27], v[18:19]
	v_mul_f64_e32 v[18:19], v[24:25], v[18:19]
	v_add_f64_e32 v[60:61], v[46:47], v[48:49]
	v_add_f64_e32 v[62:63], v[44:45], v[50:51]
	;; [unrolled: 1-line block ×4, first 2 shown]
	v_fma_f64 v[56:57], v[0:1], v[12:13], -v[56:57]
	v_fma_f64 v[58:59], v[2:3], v[12:13], v[58:59]
	v_fma_f64 v[64:65], v[4:5], v[16:17], -v[66:67]
	v_fma_f64 v[66:67], v[6:7], v[16:17], v[69:70]
	v_add_f64_e64 v[0:1], v[46:47], -v[48:49]
	v_add_f64_e64 v[2:3], v[44:45], -v[50:51]
	v_fma_f64 v[20:21], v[20:21], v[12:13], -v[71:72]
	v_fma_f64 v[12:13], v[22:23], v[12:13], v[14:15]
	v_fma_f64 v[14:15], v[24:25], v[16:17], -v[73:74]
	v_fma_f64 v[16:17], v[26:27], v[16:17], v[18:19]
	v_add_f64_e64 v[18:19], v[30:31], -v[34:35]
	v_add_f64_e64 v[22:23], v[28:29], -v[32:33]
	v_add_f64_e32 v[28:29], v[40:41], v[28:29]
	v_fma_f64 v[4:5], v[60:61], -0.5, v[38:39]
	v_fma_f64 v[6:7], v[62:63], -0.5, v[36:37]
	v_add_f64_e32 v[36:37], v[36:37], v[44:45]
	v_add_f64_e32 v[38:39], v[38:39], v[46:47]
	v_fma_f64 v[10:11], v[10:11], -0.5, v[8:9]
	v_fma_f64 v[24:25], v[42:43], -0.5, v[40:41]
	v_add_f64_e32 v[8:9], v[8:9], v[30:31]
	v_add_f64_e32 v[26:27], v[56:57], v[64:65]
	v_add_f64_e32 v[42:43], v[58:59], v[66:67]
	v_add_f64_e32 v[73:74], v[20:21], v[14:15]
	v_add_f64_e32 v[75:76], v[12:13], v[16:17]
	v_add_f64_e32 v[28:29], v[28:29], v[32:33]
	s_wait_alu 0xfffe
	v_fma_f64 v[60:61], v[2:3], s[2:3], v[4:5]
	v_fma_f64 v[62:63], v[0:1], s[2:3], v[6:7]
	;; [unrolled: 1-line block ×8, first 2 shown]
	ds_load_b128 v[0:3], v68
	ds_load_b128 v[4:7], v68 offset:832
	v_add_f64_e64 v[24:25], v[58:59], -v[66:67]
	v_add_f64_e32 v[36:37], v[36:37], v[50:51]
	v_add_f64_e32 v[38:39], v[38:39], v[48:49]
	;; [unrolled: 1-line block ×3, first 2 shown]
	global_wb scope:SCOPE_SE
	s_wait_dscnt 0x0
	s_barrier_signal -1
	s_barrier_wait -1
	global_inv scope:SCOPE_SE
	v_add_f64_e32 v[22:23], v[0:1], v[56:57]
	v_add_f64_e32 v[58:59], v[2:3], v[58:59]
	v_fma_f64 v[0:1], v[26:27], -0.5, v[0:1]
	v_add_f64_e64 v[26:27], v[56:57], -v[64:65]
	v_fma_f64 v[2:3], v[42:43], -0.5, v[2:3]
	v_add_f64_e32 v[44:45], v[4:5], v[20:21]
	v_add_f64_e32 v[46:47], v[6:7], v[12:13]
	v_add_f64_e64 v[12:13], v[12:13], -v[16:17]
	v_fma_f64 v[4:5], v[73:74], -0.5, v[4:5]
	v_add_f64_e64 v[20:21], v[20:21], -v[14:15]
	v_mul_f64_e32 v[30:31], s[0:1], v[60:61]
	v_mul_f64_e32 v[40:41], -0.5, v[62:63]
	v_mul_f64_e32 v[42:43], s[2:3], v[69:70]
	v_mul_f64_e32 v[56:57], -0.5, v[71:72]
	v_fma_f64 v[6:7], v[75:76], -0.5, v[6:7]
	v_mul_f64_e32 v[73:74], s[0:1], v[77:78]
	v_mul_f64_e32 v[81:82], s[2:3], v[18:19]
	v_mul_f64_e32 v[75:76], -0.5, v[79:80]
	v_mul_f64_e32 v[83:84], -0.5, v[10:11]
	v_add_f64_e32 v[22:23], v[22:23], v[64:65]
	v_add_f64_e32 v[58:59], v[58:59], v[66:67]
	v_fma_f64 v[32:33], v[24:25], s[0:1], v[0:1]
	v_fma_f64 v[0:1], v[24:25], s[2:3], v[0:1]
	;; [unrolled: 1-line block ×3, first 2 shown]
	v_add_f64_e32 v[44:45], v[44:45], v[14:15]
	v_fma_f64 v[2:3], v[26:27], s[0:1], v[2:3]
	v_add_f64_e32 v[46:47], v[46:47], v[16:17]
	v_fma_f64 v[50:51], v[12:13], s[0:1], v[4:5]
	v_fma_f64 v[30:31], v[69:70], 0.5, v[30:31]
	v_fma_f64 v[34:35], v[71:72], s[0:1], v[40:41]
	v_fma_f64 v[40:41], v[60:61], 0.5, v[42:43]
	v_fma_f64 v[42:43], v[62:63], s[2:3], v[56:57]
	v_fma_f64 v[60:61], v[20:21], s[2:3], v[6:7]
	v_fma_f64 v[64:65], v[18:19], 0.5, v[73:74]
	v_fma_f64 v[69:70], v[77:78], 0.5, v[81:82]
	v_fma_f64 v[56:57], v[12:13], s[2:3], v[4:5]
	v_fma_f64 v[62:63], v[20:21], s[0:1], v[6:7]
	;; [unrolled: 1-line block ×4, first 2 shown]
	v_add_f64_e32 v[4:5], v[22:23], v[36:37]
	v_add_f64_e32 v[6:7], v[58:59], v[38:39]
	v_add_f64_e64 v[10:11], v[22:23], -v[36:37]
	v_add_f64_e64 v[12:13], v[58:59], -v[38:39]
	v_add_f64_e32 v[14:15], v[44:45], v[28:29]
	v_add_f64_e64 v[18:19], v[44:45], -v[28:29]
	v_add_f64_e32 v[16:17], v[46:47], v[8:9]
	v_add_f64_e64 v[20:21], v[46:47], -v[8:9]
	v_lshlrev_b64_e32 v[8:9], 4, v[52:53]
	v_add_f64_e32 v[22:23], v[32:33], v[30:31]
	v_add_f64_e32 v[26:27], v[0:1], v[34:35]
	;; [unrolled: 1-line block ×4, first 2 shown]
	v_add_f64_e64 v[30:31], v[32:33], -v[30:31]
	v_add_f64_e64 v[32:33], v[48:49], -v[40:41]
	;; [unrolled: 1-line block ×4, first 2 shown]
	v_add_f64_e32 v[38:39], v[50:51], v[64:65]
	v_add_f64_e32 v[40:41], v[60:61], v[69:70]
	;; [unrolled: 1-line block ×4, first 2 shown]
	v_add_f64_e64 v[46:47], v[50:51], -v[64:65]
	v_add_f64_e64 v[48:49], v[60:61], -v[69:70]
	;; [unrolled: 1-line block ×4, first 2 shown]
	v_add_co_u32 v2, s0, s4, v8
	s_wait_alu 0xf1ff
	v_add_co_ci_u32_e64 v3, s0, s5, v9, s0
	v_cmp_ne_u32_e64 s0, 0, v52
	ds_store_b128 v68, v[4:7]
	ds_store_b128 v68, v[22:25] offset:832
	ds_store_b128 v68, v[26:29] offset:1664
	;; [unrolled: 1-line block ×11, first 2 shown]
	global_wb scope:SCOPE_SE
	s_wait_dscnt 0x0
	s_barrier_signal -1
	s_barrier_wait -1
	global_inv scope:SCOPE_SE
	s_clause 0x5
	global_load_b128 v[4:7], v[2:3], off offset:4784
	global_load_b128 v[10:13], v[2:3], off offset:5616
	global_load_b128 v[14:17], v[2:3], off offset:6448
	global_load_b128 v[18:21], v[2:3], off offset:7280
	global_load_b128 v[22:25], v[2:3], off offset:8112
	global_load_b128 v[26:29], v[2:3], off offset:8944
	ds_load_b128 v[30:33], v68 offset:4992
	ds_load_b128 v[34:37], v68 offset:5824
	;; [unrolled: 1-line block ×6, first 2 shown]
	s_wait_loadcnt_dscnt 0x505
	v_mul_f64_e32 v[0:1], v[32:33], v[6:7]
	v_mul_f64_e32 v[6:7], v[30:31], v[6:7]
	s_wait_loadcnt_dscnt 0x404
	v_mul_f64_e32 v[50:51], v[36:37], v[12:13]
	v_mul_f64_e32 v[12:13], v[34:35], v[12:13]
	;; [unrolled: 3-line block ×6, first 2 shown]
	v_fma_f64 v[0:1], v[30:31], v[4:5], -v[0:1]
	v_fma_f64 v[32:33], v[32:33], v[4:5], v[6:7]
	v_fma_f64 v[34:35], v[34:35], v[10:11], -v[50:51]
	v_fma_f64 v[36:37], v[36:37], v[10:11], v[12:13]
	;; [unrolled: 2-line block ×6, first 2 shown]
	ds_load_b128 v[4:7], v68
	ds_load_b128 v[10:13], v68 offset:832
	ds_load_b128 v[14:17], v68 offset:1664
	;; [unrolled: 1-line block ×5, first 2 shown]
	global_wb scope:SCOPE_SE
	s_wait_dscnt 0x0
	s_barrier_signal -1
	s_barrier_wait -1
	global_inv scope:SCOPE_SE
	v_add_f64_e64 v[30:31], v[4:5], -v[0:1]
	v_add_f64_e64 v[32:33], v[6:7], -v[32:33]
	;; [unrolled: 1-line block ×12, first 2 shown]
	v_lshlrev_b32_e32 v0, 4, v52
	v_fma_f64 v[4:5], v[4:5], 2.0, -v[30:31]
	v_fma_f64 v[6:7], v[6:7], 2.0, -v[32:33]
	;; [unrolled: 1-line block ×12, first 2 shown]
	ds_store_b128 v68, v[30:33] offset:4992
	ds_store_b128 v68, v[34:37] offset:5824
	;; [unrolled: 1-line block ×6, first 2 shown]
	ds_store_b128 v68, v[4:7]
	ds_store_b128 v68, v[10:13] offset:832
	ds_store_b128 v68, v[14:17] offset:1664
	;; [unrolled: 1-line block ×5, first 2 shown]
	global_wb scope:SCOPE_SE
	s_wait_dscnt 0x0
	s_barrier_signal -1
	s_barrier_wait -1
	global_inv scope:SCOPE_SE
	ds_load_b128 v[4:7], v68
	v_sub_nc_u32_e32 v14, 0, v0
                                        ; implicit-def: $vgpr0_vgpr1
                                        ; implicit-def: $vgpr10_vgpr11
                                        ; implicit-def: $vgpr12_vgpr13
	s_and_saveexec_b32 s1, s0
	s_wait_alu 0xfffe
	s_xor_b32 s0, exec_lo, s1
	s_cbranch_execz .LBB0_15
; %bb.14:
	global_load_b128 v[15:18], v[2:3], off offset:9776
	ds_load_b128 v[0:3], v14 offset:9984
	s_wait_dscnt 0x0
	v_add_f64_e64 v[10:11], v[4:5], -v[0:1]
	v_add_f64_e32 v[12:13], v[6:7], v[2:3]
	v_add_f64_e64 v[2:3], v[6:7], -v[2:3]
	v_add_f64_e32 v[0:1], v[4:5], v[0:1]
	s_delay_alu instid0(VALU_DEP_4) | instskip(NEXT) | instid1(VALU_DEP_4)
	v_mul_f64_e32 v[6:7], 0.5, v[10:11]
	v_mul_f64_e32 v[4:5], 0.5, v[12:13]
	s_delay_alu instid0(VALU_DEP_4) | instskip(SKIP_1) | instid1(VALU_DEP_3)
	v_mul_f64_e32 v[2:3], 0.5, v[2:3]
	s_wait_loadcnt 0x0
	v_mul_f64_e32 v[10:11], v[6:7], v[17:18]
	s_delay_alu instid0(VALU_DEP_2) | instskip(SKIP_1) | instid1(VALU_DEP_3)
	v_fma_f64 v[12:13], v[4:5], v[17:18], v[2:3]
	v_fma_f64 v[2:3], v[4:5], v[17:18], -v[2:3]
	v_fma_f64 v[19:20], v[0:1], 0.5, v[10:11]
	v_fma_f64 v[0:1], v[0:1], 0.5, -v[10:11]
	s_delay_alu instid0(VALU_DEP_4) | instskip(NEXT) | instid1(VALU_DEP_4)
	v_fma_f64 v[12:13], -v[15:16], v[6:7], v[12:13]
	v_fma_f64 v[2:3], -v[15:16], v[6:7], v[2:3]
	s_delay_alu instid0(VALU_DEP_4) | instskip(NEXT) | instid1(VALU_DEP_4)
	v_fma_f64 v[10:11], v[4:5], v[15:16], v[19:20]
	v_fma_f64 v[0:1], -v[4:5], v[15:16], v[0:1]
                                        ; implicit-def: $vgpr4_vgpr5
.LBB0_15:
	s_wait_alu 0xfffe
	s_and_not1_saveexec_b32 s0, s0
	s_cbranch_execz .LBB0_17
; %bb.16:
	s_wait_dscnt 0x0
	v_add_f64_e32 v[10:11], v[4:5], v[6:7]
	v_add_f64_e64 v[0:1], v[4:5], -v[6:7]
	v_mov_b32_e32 v6, 0
	v_mov_b32_e32 v12, 0
	v_mov_b32_e32 v13, 0
	s_delay_alu instid0(VALU_DEP_2)
	v_mov_b32_e32 v2, v12
	ds_load_b64 v[4:5], v6 offset:5000
	v_mov_b32_e32 v3, v13
	s_wait_dscnt 0x0
	v_xor_b32_e32 v5, 0x80000000, v5
	ds_store_b64 v6, v[4:5] offset:5000
.LBB0_17:
	s_wait_alu 0xfffe
	s_or_b32 exec_lo, exec_lo, s0
	s_add_nc_u64 s[0:1], s[4:5], 0x2630
	s_wait_alu 0xfffe
	v_add_co_u32 v19, s0, s0, v8
	s_wait_alu 0xf1ff
	v_add_co_ci_u32_e64 v20, s0, s1, v9, s0
	s_wait_dscnt 0x0
	s_clause 0x1
	global_load_b128 v[4:7], v[19:20], off offset:832
	global_load_b128 v[15:18], v[19:20], off offset:1664
	ds_store_2addr_b64 v68, v[10:11], v[12:13] offset1:1
	ds_store_b128 v14, v[0:3] offset:9984
	ds_load_b128 v[0:3], v68 offset:832
	ds_load_b128 v[10:13], v14 offset:9152
	s_wait_dscnt 0x0
	v_add_f64_e64 v[21:22], v[0:1], -v[10:11]
	v_add_f64_e32 v[23:24], v[2:3], v[12:13]
	v_add_f64_e64 v[2:3], v[2:3], -v[12:13]
	v_add_f64_e32 v[0:1], v[0:1], v[10:11]
	s_delay_alu instid0(VALU_DEP_4) | instskip(NEXT) | instid1(VALU_DEP_4)
	v_mul_f64_e32 v[12:13], 0.5, v[21:22]
	v_mul_f64_e32 v[21:22], 0.5, v[23:24]
	s_delay_alu instid0(VALU_DEP_4) | instskip(SKIP_1) | instid1(VALU_DEP_3)
	v_mul_f64_e32 v[2:3], 0.5, v[2:3]
	s_wait_loadcnt 0x1
	v_mul_f64_e32 v[10:11], v[12:13], v[6:7]
	s_delay_alu instid0(VALU_DEP_2) | instskip(SKIP_1) | instid1(VALU_DEP_3)
	v_fma_f64 v[23:24], v[21:22], v[6:7], v[2:3]
	v_fma_f64 v[2:3], v[21:22], v[6:7], -v[2:3]
	v_fma_f64 v[6:7], v[0:1], 0.5, v[10:11]
	v_fma_f64 v[0:1], v[0:1], 0.5, -v[10:11]
	s_delay_alu instid0(VALU_DEP_4) | instskip(NEXT) | instid1(VALU_DEP_4)
	v_fma_f64 v[10:11], -v[4:5], v[12:13], v[23:24]
	v_fma_f64 v[2:3], -v[4:5], v[12:13], v[2:3]
	s_delay_alu instid0(VALU_DEP_4) | instskip(NEXT) | instid1(VALU_DEP_4)
	v_fma_f64 v[12:13], v[21:22], v[4:5], v[6:7]
	v_fma_f64 v[0:1], -v[21:22], v[4:5], v[0:1]
	global_load_b128 v[4:7], v[19:20], off offset:2496
	ds_store_2addr_b64 v68, v[12:13], v[10:11] offset0:104 offset1:105
	ds_store_b128 v14, v[0:3] offset:9152
	ds_load_b128 v[0:3], v68 offset:1664
	ds_load_b128 v[10:13], v14 offset:8320
	s_wait_dscnt 0x0
	v_add_f64_e64 v[21:22], v[0:1], -v[10:11]
	v_add_f64_e32 v[23:24], v[2:3], v[12:13]
	v_add_f64_e64 v[2:3], v[2:3], -v[12:13]
	v_add_f64_e32 v[0:1], v[0:1], v[10:11]
	s_delay_alu instid0(VALU_DEP_4) | instskip(NEXT) | instid1(VALU_DEP_4)
	v_mul_f64_e32 v[12:13], 0.5, v[21:22]
	v_mul_f64_e32 v[21:22], 0.5, v[23:24]
	s_delay_alu instid0(VALU_DEP_4) | instskip(SKIP_1) | instid1(VALU_DEP_3)
	v_mul_f64_e32 v[2:3], 0.5, v[2:3]
	s_wait_loadcnt 0x1
	v_mul_f64_e32 v[10:11], v[12:13], v[17:18]
	s_delay_alu instid0(VALU_DEP_2) | instskip(SKIP_1) | instid1(VALU_DEP_3)
	v_fma_f64 v[23:24], v[21:22], v[17:18], v[2:3]
	v_fma_f64 v[2:3], v[21:22], v[17:18], -v[2:3]
	v_fma_f64 v[17:18], v[0:1], 0.5, v[10:11]
	v_fma_f64 v[0:1], v[0:1], 0.5, -v[10:11]
	s_delay_alu instid0(VALU_DEP_4) | instskip(NEXT) | instid1(VALU_DEP_4)
	v_fma_f64 v[23:24], -v[15:16], v[12:13], v[23:24]
	v_fma_f64 v[2:3], -v[15:16], v[12:13], v[2:3]
	global_load_b128 v[10:13], v[19:20], off offset:3328
	v_fma_f64 v[17:18], v[21:22], v[15:16], v[17:18]
	v_fma_f64 v[0:1], -v[21:22], v[15:16], v[0:1]
	ds_store_2addr_b64 v68, v[17:18], v[23:24] offset0:208 offset1:209
	ds_store_b128 v14, v[0:3] offset:8320
	ds_load_b128 v[0:3], v68 offset:2496
	ds_load_b128 v[15:18], v14 offset:7488
	s_wait_dscnt 0x0
	v_add_f64_e64 v[21:22], v[0:1], -v[15:16]
	v_add_f64_e32 v[23:24], v[2:3], v[17:18]
	v_add_f64_e64 v[2:3], v[2:3], -v[17:18]
	v_add_f64_e32 v[0:1], v[0:1], v[15:16]
	s_delay_alu instid0(VALU_DEP_4) | instskip(NEXT) | instid1(VALU_DEP_4)
	v_mul_f64_e32 v[17:18], 0.5, v[21:22]
	v_mul_f64_e32 v[21:22], 0.5, v[23:24]
	s_delay_alu instid0(VALU_DEP_4) | instskip(SKIP_1) | instid1(VALU_DEP_3)
	v_mul_f64_e32 v[2:3], 0.5, v[2:3]
	s_wait_loadcnt 0x1
	v_mul_f64_e32 v[15:16], v[17:18], v[6:7]
	s_delay_alu instid0(VALU_DEP_2) | instskip(SKIP_1) | instid1(VALU_DEP_3)
	v_fma_f64 v[23:24], v[21:22], v[6:7], v[2:3]
	v_fma_f64 v[2:3], v[21:22], v[6:7], -v[2:3]
	v_fma_f64 v[6:7], v[0:1], 0.5, v[15:16]
	v_fma_f64 v[0:1], v[0:1], 0.5, -v[15:16]
	s_delay_alu instid0(VALU_DEP_4) | instskip(NEXT) | instid1(VALU_DEP_4)
	v_fma_f64 v[15:16], -v[4:5], v[17:18], v[23:24]
	v_fma_f64 v[2:3], -v[4:5], v[17:18], v[2:3]
	v_add_nc_u32_e32 v23, 0x800, v68
	v_fma_f64 v[17:18], v[21:22], v[4:5], v[6:7]
	v_fma_f64 v[0:1], -v[21:22], v[4:5], v[0:1]
	global_load_b128 v[4:7], v[19:20], off offset:4160
	ds_store_2addr_b64 v23, v[17:18], v[15:16] offset0:56 offset1:57
	ds_store_b128 v14, v[0:3] offset:7488
	ds_load_b128 v[0:3], v68 offset:3328
	ds_load_b128 v[15:18], v14 offset:6656
	s_wait_dscnt 0x0
	v_add_f64_e64 v[19:20], v[0:1], -v[15:16]
	v_add_f64_e32 v[21:22], v[2:3], v[17:18]
	v_add_f64_e64 v[2:3], v[2:3], -v[17:18]
	v_add_f64_e32 v[0:1], v[0:1], v[15:16]
	s_delay_alu instid0(VALU_DEP_4) | instskip(NEXT) | instid1(VALU_DEP_4)
	v_mul_f64_e32 v[17:18], 0.5, v[19:20]
	v_mul_f64_e32 v[19:20], 0.5, v[21:22]
	s_delay_alu instid0(VALU_DEP_4) | instskip(SKIP_1) | instid1(VALU_DEP_3)
	v_mul_f64_e32 v[2:3], 0.5, v[2:3]
	s_wait_loadcnt 0x1
	v_mul_f64_e32 v[15:16], v[17:18], v[12:13]
	s_delay_alu instid0(VALU_DEP_2) | instskip(SKIP_1) | instid1(VALU_DEP_3)
	v_fma_f64 v[21:22], v[19:20], v[12:13], v[2:3]
	v_fma_f64 v[2:3], v[19:20], v[12:13], -v[2:3]
	v_fma_f64 v[12:13], v[0:1], 0.5, v[15:16]
	v_fma_f64 v[0:1], v[0:1], 0.5, -v[15:16]
	s_delay_alu instid0(VALU_DEP_4) | instskip(NEXT) | instid1(VALU_DEP_4)
	v_fma_f64 v[15:16], -v[10:11], v[17:18], v[21:22]
	v_fma_f64 v[2:3], -v[10:11], v[17:18], v[2:3]
	s_delay_alu instid0(VALU_DEP_4) | instskip(NEXT) | instid1(VALU_DEP_4)
	v_fma_f64 v[12:13], v[19:20], v[10:11], v[12:13]
	v_fma_f64 v[0:1], -v[19:20], v[10:11], v[0:1]
	ds_store_2addr_b64 v23, v[12:13], v[15:16] offset0:160 offset1:161
	ds_store_b128 v14, v[0:3] offset:6656
	ds_load_b128 v[0:3], v68 offset:4160
	ds_load_b128 v[10:13], v14 offset:5824
	s_wait_dscnt 0x0
	v_add_f64_e64 v[15:16], v[0:1], -v[10:11]
	v_add_f64_e32 v[17:18], v[2:3], v[12:13]
	v_add_f64_e64 v[2:3], v[2:3], -v[12:13]
	v_add_f64_e32 v[0:1], v[0:1], v[10:11]
	s_delay_alu instid0(VALU_DEP_4) | instskip(NEXT) | instid1(VALU_DEP_4)
	v_mul_f64_e32 v[12:13], 0.5, v[15:16]
	v_mul_f64_e32 v[15:16], 0.5, v[17:18]
	s_delay_alu instid0(VALU_DEP_4) | instskip(SKIP_1) | instid1(VALU_DEP_3)
	v_mul_f64_e32 v[2:3], 0.5, v[2:3]
	s_wait_loadcnt 0x0
	v_mul_f64_e32 v[10:11], v[12:13], v[6:7]
	s_delay_alu instid0(VALU_DEP_2) | instskip(SKIP_1) | instid1(VALU_DEP_3)
	v_fma_f64 v[17:18], v[15:16], v[6:7], v[2:3]
	v_fma_f64 v[2:3], v[15:16], v[6:7], -v[2:3]
	v_fma_f64 v[6:7], v[0:1], 0.5, v[10:11]
	v_fma_f64 v[0:1], v[0:1], 0.5, -v[10:11]
	s_delay_alu instid0(VALU_DEP_4) | instskip(NEXT) | instid1(VALU_DEP_4)
	v_fma_f64 v[10:11], -v[4:5], v[12:13], v[17:18]
	v_fma_f64 v[2:3], -v[4:5], v[12:13], v[2:3]
	s_delay_alu instid0(VALU_DEP_4) | instskip(NEXT) | instid1(VALU_DEP_4)
	v_fma_f64 v[6:7], v[15:16], v[4:5], v[6:7]
	v_fma_f64 v[0:1], -v[15:16], v[4:5], v[0:1]
	v_add_nc_u32_e32 v4, 0x1000, v68
	ds_store_2addr_b64 v4, v[6:7], v[10:11] offset0:8 offset1:9
	ds_store_b128 v14, v[0:3] offset:5824
	global_wb scope:SCOPE_SE
	s_wait_dscnt 0x0
	s_barrier_signal -1
	s_barrier_wait -1
	global_inv scope:SCOPE_SE
	s_and_saveexec_b32 s0, vcc_lo
	s_cbranch_execz .LBB0_20
; %bb.18:
	v_add_co_u32 v0, vcc_lo, s8, v54
	s_wait_alu 0xfffd
	v_add_co_ci_u32_e32 v1, vcc_lo, s9, v55, vcc_lo
	ds_load_b128 v[2:5], v68
	ds_load_b128 v[10:13], v68 offset:832
	ds_load_b128 v[14:17], v68 offset:1664
	;; [unrolled: 1-line block ×11, first 2 shown]
	v_add_co_u32 v6, vcc_lo, v0, v8
	s_wait_alu 0xfffd
	v_add_co_ci_u32_e32 v7, vcc_lo, v1, v9, vcc_lo
	v_cmp_eq_u32_e32 vcc_lo, 51, v52
	s_wait_dscnt 0xb
	global_store_b128 v[6:7], v[2:5], off
	s_wait_dscnt 0xa
	global_store_b128 v[6:7], v[10:13], off offset:832
	s_wait_dscnt 0x9
	global_store_b128 v[6:7], v[14:17], off offset:1664
	;; [unrolled: 2-line block ×11, first 2 shown]
	s_and_b32 exec_lo, exec_lo, vcc_lo
	s_cbranch_execz .LBB0_20
; %bb.19:
	v_mov_b32_e32 v2, 0
	ds_load_b128 v[2:5], v2 offset:9984
	s_wait_dscnt 0x0
	global_store_b128 v[0:1], v[2:5], off offset:9984
.LBB0_20:
	s_nop 0
	s_sendmsg sendmsg(MSG_DEALLOC_VGPRS)
	s_endpgm
	.section	.rodata,"a",@progbits
	.p2align	6, 0x0
	.amdhsa_kernel fft_rtc_fwd_len624_factors_13_4_6_2_wgs_52_tpt_52_dp_ip_CI_unitstride_sbrr_R2C_dirReg
		.amdhsa_group_segment_fixed_size 0
		.amdhsa_private_segment_fixed_size 0
		.amdhsa_kernarg_size 88
		.amdhsa_user_sgpr_count 2
		.amdhsa_user_sgpr_dispatch_ptr 0
		.amdhsa_user_sgpr_queue_ptr 0
		.amdhsa_user_sgpr_kernarg_segment_ptr 1
		.amdhsa_user_sgpr_dispatch_id 0
		.amdhsa_user_sgpr_private_segment_size 0
		.amdhsa_wavefront_size32 1
		.amdhsa_uses_dynamic_stack 0
		.amdhsa_enable_private_segment 0
		.amdhsa_system_sgpr_workgroup_id_x 1
		.amdhsa_system_sgpr_workgroup_id_y 0
		.amdhsa_system_sgpr_workgroup_id_z 0
		.amdhsa_system_sgpr_workgroup_info 0
		.amdhsa_system_vgpr_workitem_id 0
		.amdhsa_next_free_vgpr 235
		.amdhsa_next_free_sgpr 42
		.amdhsa_reserve_vcc 1
		.amdhsa_float_round_mode_32 0
		.amdhsa_float_round_mode_16_64 0
		.amdhsa_float_denorm_mode_32 3
		.amdhsa_float_denorm_mode_16_64 3
		.amdhsa_fp16_overflow 0
		.amdhsa_workgroup_processor_mode 1
		.amdhsa_memory_ordered 1
		.amdhsa_forward_progress 0
		.amdhsa_round_robin_scheduling 0
		.amdhsa_exception_fp_ieee_invalid_op 0
		.amdhsa_exception_fp_denorm_src 0
		.amdhsa_exception_fp_ieee_div_zero 0
		.amdhsa_exception_fp_ieee_overflow 0
		.amdhsa_exception_fp_ieee_underflow 0
		.amdhsa_exception_fp_ieee_inexact 0
		.amdhsa_exception_int_div_zero 0
	.end_amdhsa_kernel
	.text
.Lfunc_end0:
	.size	fft_rtc_fwd_len624_factors_13_4_6_2_wgs_52_tpt_52_dp_ip_CI_unitstride_sbrr_R2C_dirReg, .Lfunc_end0-fft_rtc_fwd_len624_factors_13_4_6_2_wgs_52_tpt_52_dp_ip_CI_unitstride_sbrr_R2C_dirReg
                                        ; -- End function
	.section	.AMDGPU.csdata,"",@progbits
; Kernel info:
; codeLenInByte = 9452
; NumSgprs: 44
; NumVgprs: 235
; ScratchSize: 0
; MemoryBound: 0
; FloatMode: 240
; IeeeMode: 1
; LDSByteSize: 0 bytes/workgroup (compile time only)
; SGPRBlocks: 5
; VGPRBlocks: 29
; NumSGPRsForWavesPerEU: 44
; NumVGPRsForWavesPerEU: 235
; Occupancy: 6
; WaveLimiterHint : 1
; COMPUTE_PGM_RSRC2:SCRATCH_EN: 0
; COMPUTE_PGM_RSRC2:USER_SGPR: 2
; COMPUTE_PGM_RSRC2:TRAP_HANDLER: 0
; COMPUTE_PGM_RSRC2:TGID_X_EN: 1
; COMPUTE_PGM_RSRC2:TGID_Y_EN: 0
; COMPUTE_PGM_RSRC2:TGID_Z_EN: 0
; COMPUTE_PGM_RSRC2:TIDIG_COMP_CNT: 0
	.text
	.p2alignl 7, 3214868480
	.fill 96, 4, 3214868480
	.type	__hip_cuid_a6fc85bb454047db,@object ; @__hip_cuid_a6fc85bb454047db
	.section	.bss,"aw",@nobits
	.globl	__hip_cuid_a6fc85bb454047db
__hip_cuid_a6fc85bb454047db:
	.byte	0                               ; 0x0
	.size	__hip_cuid_a6fc85bb454047db, 1

	.ident	"AMD clang version 19.0.0git (https://github.com/RadeonOpenCompute/llvm-project roc-6.4.0 25133 c7fe45cf4b819c5991fe208aaa96edf142730f1d)"
	.section	".note.GNU-stack","",@progbits
	.addrsig
	.addrsig_sym __hip_cuid_a6fc85bb454047db
	.amdgpu_metadata
---
amdhsa.kernels:
  - .args:
      - .actual_access:  read_only
        .address_space:  global
        .offset:         0
        .size:           8
        .value_kind:     global_buffer
      - .offset:         8
        .size:           8
        .value_kind:     by_value
      - .actual_access:  read_only
        .address_space:  global
        .offset:         16
        .size:           8
        .value_kind:     global_buffer
      - .actual_access:  read_only
        .address_space:  global
        .offset:         24
        .size:           8
        .value_kind:     global_buffer
      - .offset:         32
        .size:           8
        .value_kind:     by_value
      - .actual_access:  read_only
        .address_space:  global
        .offset:         40
        .size:           8
        .value_kind:     global_buffer
      - .actual_access:  read_only
        .address_space:  global
        .offset:         48
        .size:           8
        .value_kind:     global_buffer
      - .offset:         56
        .size:           4
        .value_kind:     by_value
      - .actual_access:  read_only
        .address_space:  global
        .offset:         64
        .size:           8
        .value_kind:     global_buffer
      - .actual_access:  read_only
        .address_space:  global
        .offset:         72
        .size:           8
        .value_kind:     global_buffer
      - .address_space:  global
        .offset:         80
        .size:           8
        .value_kind:     global_buffer
    .group_segment_fixed_size: 0
    .kernarg_segment_align: 8
    .kernarg_segment_size: 88
    .language:       OpenCL C
    .language_version:
      - 2
      - 0
    .max_flat_workgroup_size: 52
    .name:           fft_rtc_fwd_len624_factors_13_4_6_2_wgs_52_tpt_52_dp_ip_CI_unitstride_sbrr_R2C_dirReg
    .private_segment_fixed_size: 0
    .sgpr_count:     44
    .sgpr_spill_count: 0
    .symbol:         fft_rtc_fwd_len624_factors_13_4_6_2_wgs_52_tpt_52_dp_ip_CI_unitstride_sbrr_R2C_dirReg.kd
    .uniform_work_group_size: 1
    .uses_dynamic_stack: false
    .vgpr_count:     235
    .vgpr_spill_count: 0
    .wavefront_size: 32
    .workgroup_processor_mode: 1
amdhsa.target:   amdgcn-amd-amdhsa--gfx1201
amdhsa.version:
  - 1
  - 2
...

	.end_amdgpu_metadata
